;; amdgpu-corpus repo=zjin-lcf/HeCBench kind=compiled arch=gfx1250 opt=O3
	.amdgcn_target "amdgcn-amd-amdhsa--gfx1250"
	.amdhsa_code_object_version 6
	.text
	.protected	_Z14barrel_distortPK15HIP_vector_typeIhLj3EEPS0_PK10Properties ; -- Begin function _Z14barrel_distortPK15HIP_vector_typeIhLj3EEPS0_PK10Properties
	.globl	_Z14barrel_distortPK15HIP_vector_typeIhLj3EEPS0_PK10Properties
	.p2align	8
	.type	_Z14barrel_distortPK15HIP_vector_typeIhLj3EEPS0_PK10Properties,@function
_Z14barrel_distortPK15HIP_vector_typeIhLj3EEPS0_PK10Properties: ; @_Z14barrel_distortPK15HIP_vector_typeIhLj3EEPS0_PK10Properties
; %bb.0:
	s_clause 0x1
	s_load_b32 s5, s[0:1], 0x24
	s_load_b64 s[2:3], s[0:1], 0x10
	s_bfe_u32 s4, ttmp6, 0x4000c
	s_bfe_u32 s7, ttmp6, 0x40010
	s_add_co_i32 s4, s4, 1
	s_add_co_i32 s7, s7, 1
	s_mul_i32 s9, ttmp9, s4
	s_bfe_u32 s8, ttmp6, 0x40004
	s_mul_i32 s7, ttmp7, s7
	s_and_b32 s6, ttmp6, 15
	s_add_co_i32 s8, s8, s7
	s_getreg_b32 s7, hwreg(HW_REG_IB_STS2, 6, 4)
	s_add_co_i32 s6, s6, s9
	v_and_b32_e32 v1, 0x3ff, v0
	s_wait_kmcnt 0x0
	s_and_b32 s10, s5, 0xffff
	s_load_b32 s4, s[2:3], 0xc
	s_cmp_eq_u32 s7, 0
	s_cselect_b32 s6, ttmp9, s6
	s_cselect_b32 s7, ttmp7, s8
	v_mad_u32 v2, s6, s10, v1
	s_mov_b32 s6, exec_lo
	s_wait_kmcnt 0x0
	s_delay_alu instid0(VALU_DEP_1)
	v_cmpx_gt_i32_e64 s4, v2
	s_cbranch_execz .LBB0_9
; %bb.1:
	s_load_b32 s6, s[2:3], 0x10
	v_bfe_u32 v0, v0, 10, 10
	s_lshr_b32 s5, s5, 16
	s_delay_alu instid0(VALU_DEP_1) | instid1(SALU_CYCLE_1)
	v_mad_u32 v3, s7, s5, v0
	s_wait_kmcnt 0x0
	s_delay_alu instid0(VALU_DEP_1)
	v_cmp_gt_i32_e32 vcc_lo, s6, v3
	s_and_b32 exec_lo, exec_lo, vcc_lo
	s_cbranch_execz .LBB0_9
; %bb.2:
	s_clause 0x1
	s_load_b128 s[8:11], s[2:3], 0x18
	s_load_b96 s[12:14], s[2:3], 0x0
	v_cvt_f32_i32_e32 v1, v3
	v_cvt_f32_i32_e32 v0, v2
	s_wait_xcnt 0x0
	s_load_b64 s[2:3], s[0:1], 0x8
	s_wait_kmcnt 0x0
	v_mov_b64_e32 v[6:7], s[8:9]
	v_dual_mov_b32 v4, s10 :: v_dual_mov_b32 v5, s11
	v_dual_mov_b32 v8, s13 :: v_dual_mov_b32 v9, s14
	s_delay_alu instid0(VALU_DEP_2) | instskip(NEXT) | instid1(VALU_DEP_1)
	v_pk_fma_f32 v[0:1], v[6:7], v[0:1], v[4:5]
	v_pk_add_f32 v[4:5], v[0:1], v[8:9] neg_lo:[0,1] neg_hi:[0,1]
	s_delay_alu instid0(VALU_DEP_1) | instskip(SKIP_1) | instid1(VALU_DEP_2)
	v_pk_mul_f32 v[6:7], v[4:5], v[4:5]
	v_pk_mul_f32 v[4:5], v[4:5], s[12:13] op_sel_hi:[1,0]
	v_add_f32_e32 v6, v6, v7
	s_delay_alu instid0(VALU_DEP_1) | instskip(SKIP_1) | instid1(VALU_DEP_2)
	v_pk_fma_f32 v[0:1], v[4:5], v[6:7], v[0:1] op_sel_hi:[1,0,1]
	v_dual_mov_b32 v6, 0 :: v_dual_mov_b32 v5, 0
	v_min_num_f32_e32 v4, v1, v0
	s_delay_alu instid0(VALU_DEP_1)
	v_cmp_ngt_f32_e32 vcc_lo, 0, v4
	v_mov_b32_e32 v4, 0
	s_and_saveexec_b32 s5, vcc_lo
	s_cbranch_execz .LBB0_8
; %bb.3:
	s_add_co_i32 s6, s6, -1
	v_dual_mov_b32 v4, 0 :: v_dual_mov_b32 v5, 0
	s_cvt_f32_i32 s6, s6
	v_mov_b32_e32 v6, 0
	s_delay_alu instid0(SALU_CYCLE_2)
	v_cmp_nlt_f32_e32 vcc_lo, s6, v1
	s_and_saveexec_b32 s6, vcc_lo
	s_cbranch_execz .LBB0_7
; %bb.4:
	s_add_co_i32 s7, s4, -1
	v_dual_mov_b32 v4, 0 :: v_dual_mov_b32 v5, 0
	s_cvt_f32_i32 s7, s7
	v_mov_b32_e32 v6, 0
	s_delay_alu instid0(SALU_CYCLE_2)
	v_cmp_nlt_f32_e32 vcc_lo, s7, v0
	s_and_saveexec_b32 s7, vcc_lo
	s_cbranch_execz .LBB0_6
; %bb.5:
	v_floor_f32_e32 v4, v1
	v_ceil_f32_e32 v5, v1
	s_load_b64 s[0:1], s[0:1], 0x0
	v_ceil_f32_e32 v7, v0
	s_delay_alu instid0(VALU_DEP_3) | instskip(NEXT) | instid1(VALU_DEP_3)
	v_cvt_i32_f32_e32 v12, v4
	v_cvt_i32_f32_e32 v4, v5
	v_floor_f32_e32 v5, v0
	s_delay_alu instid0(VALU_DEP_3) | instskip(NEXT) | instid1(VALU_DEP_3)
	v_mul_lo_u32 v6, s4, v12
	v_mul_lo_u32 v4, s4, v4
	s_delay_alu instid0(VALU_DEP_3) | instskip(SKIP_1) | instid1(VALU_DEP_2)
	v_cvt_i32_f32_e32 v13, v5
	v_cvt_i32_f32_e32 v5, v7
	v_dual_add_nc_u32 v7, v6, v13 :: v_dual_add_nc_u32 v10, v4, v13
	s_delay_alu instid0(VALU_DEP_2) | instskip(SKIP_1) | instid1(VALU_DEP_2)
	v_dual_add_nc_u32 v6, v6, v5 :: v_dual_add_nc_u32 v8, v4, v5
	s_wait_kmcnt 0x0
	v_mad_nc_i64_i32 v[4:5], v7, 3, s[0:1]
	s_delay_alu instid0(VALU_DEP_3) | instskip(NEXT) | instid1(VALU_DEP_3)
	v_mad_nc_i64_i32 v[10:11], v10, 3, s[0:1]
	v_mad_nc_i64_i32 v[6:7], v6, 3, s[0:1]
	;; [unrolled: 1-line block ×3, first 2 shown]
	s_clause 0x7
	global_load_u16 v14, v[4:5], off
	global_load_u16 v15, v[6:7], off
	;; [unrolled: 1-line block ×4, first 2 shown]
	global_load_u8 v18, v[10:11], off offset:2
	global_load_u8 v19, v[6:7], off offset:2
	;; [unrolled: 1-line block ×4, first 2 shown]
	s_wait_xcnt 0x1
	v_cvt_f32_i32_e32 v5, v12
	v_cvt_f32_i32_e32 v4, v13
	s_delay_alu instid0(VALU_DEP_1) | instskip(NEXT) | instid1(VALU_DEP_1)
	v_pk_add_f32 v[0:1], v[0:1], v[4:5] neg_lo:[0,1] neg_hi:[0,1]
	v_pk_add_f32 v[4:5], v[0:1], 1.0 op_sel_hi:[1,0] neg_lo:[1,0] neg_hi:[1,0]
	s_wait_loadcnt 0x7
	v_cvt_f32_ubyte0_e32 v6, v14
	s_wait_loadcnt 0x6
	v_cvt_f32_ubyte0_e32 v7, v15
	s_wait_loadcnt 0x5
	s_wait_xcnt 0x0
	v_cvt_f32_ubyte0_e32 v8, v16
	v_cvt_f32_ubyte1_e32 v12, v15
	s_wait_loadcnt 0x4
	v_cvt_f32_ubyte0_e32 v10, v17
	v_cvt_f32_ubyte1_e32 v11, v14
	s_wait_loadcnt 0x1
	v_cvt_f32_ubyte0_e32 v15, v20
	v_cvt_f32_ubyte1_e32 v14, v17
	v_cvt_f32_ubyte0_e32 v9, v19
	v_cvt_f32_ubyte0_e32 v17, v18
	v_dual_mul_f32 v6, v5, v6 :: v_dual_mul_f32 v12, v5, v12
	v_dual_mul_f32 v18, v1, v8 :: v_dual_mul_f32 v10, v1, v10
	v_mul_f32_e32 v8, v5, v15
	v_cvt_f32_ubyte1_e32 v13, v16
	s_wait_loadcnt 0x0
	v_cvt_f32_ubyte0_e32 v16, v21
	v_pk_mul_f32 v[6:7], v[4:5], v[6:7]
	v_mul_f32_e32 v12, v0, v12
	v_pk_mul_f32 v[8:9], v[4:5], v[8:9]
	v_mul_f32_e32 v11, v5, v11
	v_dual_mul_f32 v5, v1, v13 :: v_dual_mul_f32 v13, v1, v16
	v_dual_fmac_f32 v6, v0, v7 :: v_dual_mul_f32 v7, v1, v14
	s_delay_alu instid0(VALU_DEP_4) | instskip(NEXT) | instid1(VALU_DEP_4)
	v_fmac_f32_e32 v8, v0, v9
	v_dual_fmac_f32 v12, v4, v11 :: v_dual_mul_f32 v1, v1, v17
	s_delay_alu instid0(VALU_DEP_2) | instskip(NEXT) | instid1(VALU_DEP_2)
	v_dual_fmac_f32 v6, v0, v18 :: v_dual_fmac_f32 v8, v0, v13
	v_fmac_f32_e32 v12, v0, v5
	s_delay_alu instid0(VALU_DEP_2) | instskip(NEXT) | instid1(VALU_DEP_2)
	v_dual_fmac_f32 v6, v4, v10 :: v_dual_fmac_f32 v8, v4, v1
	v_fmac_f32_e32 v12, v4, v7
	s_delay_alu instid0(VALU_DEP_2) | instskip(NEXT) | instid1(VALU_DEP_3)
	v_cvt_i32_f32_e32 v5, v6
	v_cvt_i32_f32_e32 v4, v8
	s_delay_alu instid0(VALU_DEP_3)
	v_cvt_i32_f32_e32 v6, v12
.LBB0_6:
	s_or_b32 exec_lo, exec_lo, s7
.LBB0_7:
	s_delay_alu instid0(SALU_CYCLE_1)
	s_or_b32 exec_lo, exec_lo, s6
.LBB0_8:
	s_delay_alu instid0(SALU_CYCLE_1) | instskip(SKIP_2) | instid1(VALU_DEP_1)
	s_or_b32 exec_lo, exec_lo, s5
	v_mad_u32 v0, v3, s4, v2
	v_lshlrev_b16 v2, 8, v6
	v_or_b32_e32 v2, v5, v2
	s_delay_alu instid0(VALU_DEP_3)
	v_mad_nc_i64_i32 v[0:1], v0, 3, s[2:3]
	s_clause 0x1
	global_store_b8 v[0:1], v4, off offset:2
	global_store_b16 v[0:1], v2, off
.LBB0_9:
	s_endpgm
	.section	.rodata,"a",@progbits
	.p2align	6, 0x0
	.amdhsa_kernel _Z14barrel_distortPK15HIP_vector_typeIhLj3EEPS0_PK10Properties
		.amdhsa_group_segment_fixed_size 0
		.amdhsa_private_segment_fixed_size 0
		.amdhsa_kernarg_size 280
		.amdhsa_user_sgpr_count 2
		.amdhsa_user_sgpr_dispatch_ptr 0
		.amdhsa_user_sgpr_queue_ptr 0
		.amdhsa_user_sgpr_kernarg_segment_ptr 1
		.amdhsa_user_sgpr_dispatch_id 0
		.amdhsa_user_sgpr_kernarg_preload_length 0
		.amdhsa_user_sgpr_kernarg_preload_offset 0
		.amdhsa_user_sgpr_private_segment_size 0
		.amdhsa_wavefront_size32 1
		.amdhsa_uses_dynamic_stack 0
		.amdhsa_enable_private_segment 0
		.amdhsa_system_sgpr_workgroup_id_x 1
		.amdhsa_system_sgpr_workgroup_id_y 1
		.amdhsa_system_sgpr_workgroup_id_z 0
		.amdhsa_system_sgpr_workgroup_info 0
		.amdhsa_system_vgpr_workitem_id 1
		.amdhsa_next_free_vgpr 22
		.amdhsa_next_free_sgpr 15
		.amdhsa_named_barrier_count 0
		.amdhsa_reserve_vcc 1
		.amdhsa_float_round_mode_32 0
		.amdhsa_float_round_mode_16_64 0
		.amdhsa_float_denorm_mode_32 3
		.amdhsa_float_denorm_mode_16_64 3
		.amdhsa_fp16_overflow 0
		.amdhsa_memory_ordered 1
		.amdhsa_forward_progress 1
		.amdhsa_inst_pref_size 8
		.amdhsa_round_robin_scheduling 0
		.amdhsa_exception_fp_ieee_invalid_op 0
		.amdhsa_exception_fp_denorm_src 0
		.amdhsa_exception_fp_ieee_div_zero 0
		.amdhsa_exception_fp_ieee_overflow 0
		.amdhsa_exception_fp_ieee_underflow 0
		.amdhsa_exception_fp_ieee_inexact 0
		.amdhsa_exception_int_div_zero 0
	.end_amdhsa_kernel
	.text
.Lfunc_end0:
	.size	_Z14barrel_distortPK15HIP_vector_typeIhLj3EEPS0_PK10Properties, .Lfunc_end0-_Z14barrel_distortPK15HIP_vector_typeIhLj3EEPS0_PK10Properties
                                        ; -- End function
	.set _Z14barrel_distortPK15HIP_vector_typeIhLj3EEPS0_PK10Properties.num_vgpr, 22
	.set _Z14barrel_distortPK15HIP_vector_typeIhLj3EEPS0_PK10Properties.num_agpr, 0
	.set _Z14barrel_distortPK15HIP_vector_typeIhLj3EEPS0_PK10Properties.numbered_sgpr, 15
	.set _Z14barrel_distortPK15HIP_vector_typeIhLj3EEPS0_PK10Properties.num_named_barrier, 0
	.set _Z14barrel_distortPK15HIP_vector_typeIhLj3EEPS0_PK10Properties.private_seg_size, 0
	.set _Z14barrel_distortPK15HIP_vector_typeIhLj3EEPS0_PK10Properties.uses_vcc, 1
	.set _Z14barrel_distortPK15HIP_vector_typeIhLj3EEPS0_PK10Properties.uses_flat_scratch, 0
	.set _Z14barrel_distortPK15HIP_vector_typeIhLj3EEPS0_PK10Properties.has_dyn_sized_stack, 0
	.set _Z14barrel_distortPK15HIP_vector_typeIhLj3EEPS0_PK10Properties.has_recursion, 0
	.set _Z14barrel_distortPK15HIP_vector_typeIhLj3EEPS0_PK10Properties.has_indirect_call, 0
	.section	.AMDGPU.csdata,"",@progbits
; Kernel info:
; codeLenInByte = 1000
; TotalNumSgprs: 17
; NumVgprs: 22
; ScratchSize: 0
; MemoryBound: 0
; FloatMode: 240
; IeeeMode: 1
; LDSByteSize: 0 bytes/workgroup (compile time only)
; SGPRBlocks: 0
; VGPRBlocks: 1
; NumSGPRsForWavesPerEU: 17
; NumVGPRsForWavesPerEU: 22
; NamedBarCnt: 0
; Occupancy: 16
; WaveLimiterHint : 1
; COMPUTE_PGM_RSRC2:SCRATCH_EN: 0
; COMPUTE_PGM_RSRC2:USER_SGPR: 2
; COMPUTE_PGM_RSRC2:TRAP_HANDLER: 0
; COMPUTE_PGM_RSRC2:TGID_X_EN: 1
; COMPUTE_PGM_RSRC2:TGID_Y_EN: 1
; COMPUTE_PGM_RSRC2:TGID_Z_EN: 0
; COMPUTE_PGM_RSRC2:TIDIG_COMP_CNT: 1
	.text
	.p2alignl 7, 3214868480
	.fill 96, 4, 3214868480
	.section	.AMDGPU.gpr_maximums,"",@progbits
	.set amdgpu.max_num_vgpr, 0
	.set amdgpu.max_num_agpr, 0
	.set amdgpu.max_num_sgpr, 0
	.text
	.type	__hip_cuid_90804a8e274ebdd7,@object ; @__hip_cuid_90804a8e274ebdd7
	.section	.bss,"aw",@nobits
	.globl	__hip_cuid_90804a8e274ebdd7
__hip_cuid_90804a8e274ebdd7:
	.byte	0                               ; 0x0
	.size	__hip_cuid_90804a8e274ebdd7, 1

	.ident	"AMD clang version 22.0.0git (https://github.com/RadeonOpenCompute/llvm-project roc-7.2.4 26084 f58b06dce1f9c15707c5f808fd002e18c2accf7e)"
	.section	".note.GNU-stack","",@progbits
	.addrsig
	.addrsig_sym __hip_cuid_90804a8e274ebdd7
	.amdgpu_metadata
---
amdhsa.kernels:
  - .args:
      - .actual_access:  read_only
        .address_space:  global
        .offset:         0
        .size:           8
        .value_kind:     global_buffer
      - .actual_access:  write_only
        .address_space:  global
        .offset:         8
        .size:           8
        .value_kind:     global_buffer
      - .actual_access:  read_only
        .address_space:  global
        .offset:         16
        .size:           8
        .value_kind:     global_buffer
      - .offset:         24
        .size:           4
        .value_kind:     hidden_block_count_x
      - .offset:         28
        .size:           4
        .value_kind:     hidden_block_count_y
      - .offset:         32
        .size:           4
        .value_kind:     hidden_block_count_z
      - .offset:         36
        .size:           2
        .value_kind:     hidden_group_size_x
      - .offset:         38
        .size:           2
        .value_kind:     hidden_group_size_y
      - .offset:         40
        .size:           2
        .value_kind:     hidden_group_size_z
      - .offset:         42
        .size:           2
        .value_kind:     hidden_remainder_x
      - .offset:         44
        .size:           2
        .value_kind:     hidden_remainder_y
      - .offset:         46
        .size:           2
        .value_kind:     hidden_remainder_z
      - .offset:         64
        .size:           8
        .value_kind:     hidden_global_offset_x
      - .offset:         72
        .size:           8
        .value_kind:     hidden_global_offset_y
      - .offset:         80
        .size:           8
        .value_kind:     hidden_global_offset_z
      - .offset:         88
        .size:           2
        .value_kind:     hidden_grid_dims
    .group_segment_fixed_size: 0
    .kernarg_segment_align: 8
    .kernarg_segment_size: 280
    .language:       OpenCL C
    .language_version:
      - 2
      - 0
    .max_flat_workgroup_size: 1024
    .name:           _Z14barrel_distortPK15HIP_vector_typeIhLj3EEPS0_PK10Properties
    .private_segment_fixed_size: 0
    .sgpr_count:     17
    .sgpr_spill_count: 0
    .symbol:         _Z14barrel_distortPK15HIP_vector_typeIhLj3EEPS0_PK10Properties.kd
    .uniform_work_group_size: 1
    .uses_dynamic_stack: false
    .vgpr_count:     22
    .vgpr_spill_count: 0
    .wavefront_size: 32
amdhsa.target:   amdgcn-amd-amdhsa--gfx1250
amdhsa.version:
  - 1
  - 2
...

	.end_amdgpu_metadata
